;; amdgpu-corpus repo=ROCm/rocFFT kind=compiled arch=gfx1030 opt=O3
	.text
	.amdgcn_target "amdgcn-amd-amdhsa--gfx1030"
	.amdhsa_code_object_version 6
	.protected	fft_rtc_back_len2002_factors_2_13_7_11_wgs_182_tpt_182_halfLds_sp_op_CI_CI_unitstride_sbrr_dirReg ; -- Begin function fft_rtc_back_len2002_factors_2_13_7_11_wgs_182_tpt_182_halfLds_sp_op_CI_CI_unitstride_sbrr_dirReg
	.globl	fft_rtc_back_len2002_factors_2_13_7_11_wgs_182_tpt_182_halfLds_sp_op_CI_CI_unitstride_sbrr_dirReg
	.p2align	8
	.type	fft_rtc_back_len2002_factors_2_13_7_11_wgs_182_tpt_182_halfLds_sp_op_CI_CI_unitstride_sbrr_dirReg,@function
fft_rtc_back_len2002_factors_2_13_7_11_wgs_182_tpt_182_halfLds_sp_op_CI_CI_unitstride_sbrr_dirReg: ; @fft_rtc_back_len2002_factors_2_13_7_11_wgs_182_tpt_182_halfLds_sp_op_CI_CI_unitstride_sbrr_dirReg
; %bb.0:
	s_clause 0x2
	s_load_dwordx4 s[12:15], s[4:5], 0x0
	s_load_dwordx4 s[8:11], s[4:5], 0x58
	;; [unrolled: 1-line block ×3, first 2 shown]
	v_mul_u32_u24_e32 v1, 0x169, v0
	v_mov_b32_e32 v3, 0
	v_mov_b32_e32 v6, 0
	;; [unrolled: 1-line block ×3, first 2 shown]
	v_add_nc_u32_sdwa v8, s6, v1 dst_sel:DWORD dst_unused:UNUSED_PAD src0_sel:DWORD src1_sel:WORD_1
	v_mov_b32_e32 v9, v3
	s_waitcnt lgkmcnt(0)
	v_cmp_lt_u64_e64 s0, s[14:15], 2
	s_and_b32 vcc_lo, exec_lo, s0
	s_cbranch_vccnz .LBB0_8
; %bb.1:
	s_load_dwordx2 s[0:1], s[4:5], 0x10
	v_mov_b32_e32 v6, 0
	v_mov_b32_e32 v7, 0
	s_add_u32 s2, s18, 8
	s_addc_u32 s3, s19, 0
	v_mov_b32_e32 v1, v6
	s_add_u32 s6, s16, 8
	v_mov_b32_e32 v2, v7
	s_addc_u32 s7, s17, 0
	s_mov_b64 s[22:23], 1
	s_waitcnt lgkmcnt(0)
	s_add_u32 s20, s0, 8
	s_addc_u32 s21, s1, 0
.LBB0_2:                                ; =>This Inner Loop Header: Depth=1
	s_load_dwordx2 s[24:25], s[20:21], 0x0
	s_waitcnt lgkmcnt(0)
	v_or_b32_e32 v4, s25, v9
	v_cmp_ne_u64_e32 vcc_lo, 0, v[3:4]
                                        ; implicit-def: $vgpr4_vgpr5
	s_and_saveexec_b32 s0, vcc_lo
	s_xor_b32 s1, exec_lo, s0
	s_cbranch_execz .LBB0_4
; %bb.3:                                ;   in Loop: Header=BB0_2 Depth=1
	v_cvt_f32_u32_e32 v4, s24
	v_cvt_f32_u32_e32 v5, s25
	s_sub_u32 s0, 0, s24
	s_subb_u32 s26, 0, s25
	v_fmac_f32_e32 v4, 0x4f800000, v5
	v_rcp_f32_e32 v4, v4
	v_mul_f32_e32 v4, 0x5f7ffffc, v4
	v_mul_f32_e32 v5, 0x2f800000, v4
	v_trunc_f32_e32 v5, v5
	v_fmac_f32_e32 v4, 0xcf800000, v5
	v_cvt_u32_f32_e32 v5, v5
	v_cvt_u32_f32_e32 v4, v4
	v_mul_lo_u32 v10, s0, v5
	v_mul_hi_u32 v11, s0, v4
	v_mul_lo_u32 v12, s26, v4
	v_add_nc_u32_e32 v10, v11, v10
	v_mul_lo_u32 v11, s0, v4
	v_add_nc_u32_e32 v10, v10, v12
	v_mul_hi_u32 v12, v4, v11
	v_mul_lo_u32 v13, v4, v10
	v_mul_hi_u32 v14, v4, v10
	v_mul_hi_u32 v15, v5, v11
	v_mul_lo_u32 v11, v5, v11
	v_mul_hi_u32 v16, v5, v10
	v_mul_lo_u32 v10, v5, v10
	v_add_co_u32 v12, vcc_lo, v12, v13
	v_add_co_ci_u32_e32 v13, vcc_lo, 0, v14, vcc_lo
	v_add_co_u32 v11, vcc_lo, v12, v11
	v_add_co_ci_u32_e32 v11, vcc_lo, v13, v15, vcc_lo
	v_add_co_ci_u32_e32 v12, vcc_lo, 0, v16, vcc_lo
	v_add_co_u32 v10, vcc_lo, v11, v10
	v_add_co_ci_u32_e32 v11, vcc_lo, 0, v12, vcc_lo
	v_add_co_u32 v4, vcc_lo, v4, v10
	v_add_co_ci_u32_e32 v5, vcc_lo, v5, v11, vcc_lo
	v_mul_hi_u32 v10, s0, v4
	v_mul_lo_u32 v12, s26, v4
	v_mul_lo_u32 v11, s0, v5
	v_add_nc_u32_e32 v10, v10, v11
	v_mul_lo_u32 v11, s0, v4
	v_add_nc_u32_e32 v10, v10, v12
	v_mul_hi_u32 v12, v4, v11
	v_mul_lo_u32 v13, v4, v10
	v_mul_hi_u32 v14, v4, v10
	v_mul_hi_u32 v15, v5, v11
	v_mul_lo_u32 v11, v5, v11
	v_mul_hi_u32 v16, v5, v10
	v_mul_lo_u32 v10, v5, v10
	v_add_co_u32 v12, vcc_lo, v12, v13
	v_add_co_ci_u32_e32 v13, vcc_lo, 0, v14, vcc_lo
	v_add_co_u32 v11, vcc_lo, v12, v11
	v_add_co_ci_u32_e32 v11, vcc_lo, v13, v15, vcc_lo
	v_add_co_ci_u32_e32 v12, vcc_lo, 0, v16, vcc_lo
	v_add_co_u32 v10, vcc_lo, v11, v10
	v_add_co_ci_u32_e32 v11, vcc_lo, 0, v12, vcc_lo
	v_add_co_u32 v10, vcc_lo, v4, v10
	v_add_co_ci_u32_e32 v12, vcc_lo, v5, v11, vcc_lo
	v_mul_hi_u32 v14, v8, v10
	v_mad_u64_u32 v[10:11], null, v9, v10, 0
	v_mad_u64_u32 v[4:5], null, v8, v12, 0
	;; [unrolled: 1-line block ×3, first 2 shown]
	v_add_co_u32 v4, vcc_lo, v14, v4
	v_add_co_ci_u32_e32 v5, vcc_lo, 0, v5, vcc_lo
	v_add_co_u32 v4, vcc_lo, v4, v10
	v_add_co_ci_u32_e32 v4, vcc_lo, v5, v11, vcc_lo
	v_add_co_ci_u32_e32 v5, vcc_lo, 0, v13, vcc_lo
	v_add_co_u32 v10, vcc_lo, v4, v12
	v_add_co_ci_u32_e32 v11, vcc_lo, 0, v5, vcc_lo
	v_mul_lo_u32 v12, s25, v10
	v_mad_u64_u32 v[4:5], null, s24, v10, 0
	v_mul_lo_u32 v13, s24, v11
	v_sub_co_u32 v4, vcc_lo, v8, v4
	v_add3_u32 v5, v5, v13, v12
	v_sub_nc_u32_e32 v12, v9, v5
	v_subrev_co_ci_u32_e64 v12, s0, s25, v12, vcc_lo
	v_add_co_u32 v13, s0, v10, 2
	v_add_co_ci_u32_e64 v14, s0, 0, v11, s0
	v_sub_co_u32 v15, s0, v4, s24
	v_sub_co_ci_u32_e32 v5, vcc_lo, v9, v5, vcc_lo
	v_subrev_co_ci_u32_e64 v12, s0, 0, v12, s0
	v_cmp_le_u32_e32 vcc_lo, s24, v15
	v_cmp_eq_u32_e64 s0, s25, v5
	v_cndmask_b32_e64 v15, 0, -1, vcc_lo
	v_cmp_le_u32_e32 vcc_lo, s25, v12
	v_cndmask_b32_e64 v16, 0, -1, vcc_lo
	v_cmp_le_u32_e32 vcc_lo, s24, v4
	;; [unrolled: 2-line block ×3, first 2 shown]
	v_cndmask_b32_e64 v17, 0, -1, vcc_lo
	v_cmp_eq_u32_e32 vcc_lo, s25, v12
	v_cndmask_b32_e64 v4, v17, v4, s0
	v_cndmask_b32_e32 v12, v16, v15, vcc_lo
	v_add_co_u32 v15, vcc_lo, v10, 1
	v_add_co_ci_u32_e32 v16, vcc_lo, 0, v11, vcc_lo
	v_cmp_ne_u32_e32 vcc_lo, 0, v12
	v_cndmask_b32_e32 v5, v16, v14, vcc_lo
	v_cndmask_b32_e32 v12, v15, v13, vcc_lo
	v_cmp_ne_u32_e32 vcc_lo, 0, v4
	v_cndmask_b32_e32 v5, v11, v5, vcc_lo
	v_cndmask_b32_e32 v4, v10, v12, vcc_lo
.LBB0_4:                                ;   in Loop: Header=BB0_2 Depth=1
	s_andn2_saveexec_b32 s0, s1
	s_cbranch_execz .LBB0_6
; %bb.5:                                ;   in Loop: Header=BB0_2 Depth=1
	v_cvt_f32_u32_e32 v4, s24
	s_sub_i32 s1, 0, s24
	v_rcp_iflag_f32_e32 v4, v4
	v_mul_f32_e32 v4, 0x4f7ffffe, v4
	v_cvt_u32_f32_e32 v4, v4
	v_mul_lo_u32 v5, s1, v4
	v_mul_hi_u32 v5, v4, v5
	v_add_nc_u32_e32 v4, v4, v5
	v_mul_hi_u32 v4, v8, v4
	v_mul_lo_u32 v5, v4, s24
	v_add_nc_u32_e32 v10, 1, v4
	v_sub_nc_u32_e32 v5, v8, v5
	v_subrev_nc_u32_e32 v11, s24, v5
	v_cmp_le_u32_e32 vcc_lo, s24, v5
	v_cndmask_b32_e32 v5, v5, v11, vcc_lo
	v_cndmask_b32_e32 v4, v4, v10, vcc_lo
	v_cmp_le_u32_e32 vcc_lo, s24, v5
	v_add_nc_u32_e32 v10, 1, v4
	v_mov_b32_e32 v5, v3
	v_cndmask_b32_e32 v4, v4, v10, vcc_lo
.LBB0_6:                                ;   in Loop: Header=BB0_2 Depth=1
	s_or_b32 exec_lo, exec_lo, s0
	v_mul_lo_u32 v12, v5, s24
	v_mul_lo_u32 v13, v4, s25
	s_load_dwordx2 s[0:1], s[6:7], 0x0
	v_mad_u64_u32 v[10:11], null, v4, s24, 0
	s_load_dwordx2 s[24:25], s[2:3], 0x0
	s_add_u32 s22, s22, 1
	s_addc_u32 s23, s23, 0
	s_add_u32 s2, s2, 8
	s_addc_u32 s3, s3, 0
	s_add_u32 s6, s6, 8
	v_add3_u32 v11, v11, v13, v12
	v_sub_co_u32 v8, vcc_lo, v8, v10
	s_addc_u32 s7, s7, 0
	s_add_u32 s20, s20, 8
	v_sub_co_ci_u32_e32 v9, vcc_lo, v9, v11, vcc_lo
	s_addc_u32 s21, s21, 0
	s_waitcnt lgkmcnt(0)
	v_mul_lo_u32 v10, s0, v9
	v_mul_lo_u32 v11, s1, v8
	v_mad_u64_u32 v[6:7], null, s0, v8, v[6:7]
	v_mul_lo_u32 v9, s24, v9
	v_mul_lo_u32 v12, s25, v8
	v_mad_u64_u32 v[1:2], null, s24, v8, v[1:2]
	v_cmp_ge_u64_e64 s0, s[22:23], s[14:15]
	v_add3_u32 v7, v11, v7, v10
	v_add3_u32 v2, v12, v2, v9
	s_and_b32 vcc_lo, exec_lo, s0
	s_cbranch_vccnz .LBB0_9
; %bb.7:                                ;   in Loop: Header=BB0_2 Depth=1
	v_mov_b32_e32 v9, v5
	v_mov_b32_e32 v8, v4
	s_branch .LBB0_2
.LBB0_8:
	v_mov_b32_e32 v1, v6
	v_mov_b32_e32 v4, v8
	;; [unrolled: 1-line block ×4, first 2 shown]
.LBB0_9:
	s_load_dwordx2 s[0:1], s[4:5], 0x28
	v_mul_hi_u32 v8, 0x1681682, v0
	s_lshl_b64 s[4:5], s[14:15], 3
                                        ; implicit-def: $sgpr6
                                        ; implicit-def: $sgpr7
                                        ; implicit-def: $vgpr44
	s_add_u32 s2, s18, s4
	s_addc_u32 s3, s19, s5
	s_waitcnt lgkmcnt(0)
	v_cmp_gt_u64_e32 vcc_lo, s[0:1], v[4:5]
	v_cmp_le_u64_e64 s0, s[0:1], v[4:5]
	s_and_saveexec_b32 s1, s0
	s_xor_b32 s0, exec_lo, s1
; %bb.10:
	v_mul_u32_u24_e32 v3, 0xb6, v8
	s_mov_b32 s7, 0
	s_mov_b32 s6, 0
                                        ; implicit-def: $vgpr8
                                        ; implicit-def: $vgpr6_vgpr7
	v_sub_nc_u32_e32 v44, v0, v3
                                        ; implicit-def: $vgpr0
; %bb.11:
	s_or_saveexec_b32 s1, s0
	s_load_dwordx2 s[2:3], s[2:3], 0x0
	v_mov_b32_e32 v23, s7
	v_mov_b32_e32 v3, s6
	;; [unrolled: 1-line block ×3, first 2 shown]
                                        ; implicit-def: $vgpr21
                                        ; implicit-def: $vgpr33
                                        ; implicit-def: $vgpr25
                                        ; implicit-def: $vgpr31
                                        ; implicit-def: $vgpr27
                                        ; implicit-def: $vgpr37
                                        ; implicit-def: $vgpr29
                                        ; implicit-def: $vgpr39
                                        ; implicit-def: $vgpr35
                                        ; implicit-def: $vgpr41
                                        ; implicit-def: $vgpr43
	s_xor_b32 exec_lo, exec_lo, s1
	s_cbranch_execz .LBB0_15
; %bb.12:
	s_add_u32 s4, s16, s4
	s_addc_u32 s5, s17, s5
	v_lshlrev_b64 v[6:7], 3, v[6:7]
	s_load_dwordx2 s[4:5], s[4:5], 0x0
	v_mov_b32_e32 v22, 0
	v_mov_b32_e32 v23, 0
                                        ; implicit-def: $vgpr42
	s_waitcnt lgkmcnt(0)
	v_mul_lo_u32 v3, s5, v4
	v_mul_lo_u32 v11, s4, v5
	v_mad_u64_u32 v[9:10], null, s4, v4, 0
	s_mov_b32 s4, exec_lo
	v_add3_u32 v10, v10, v11, v3
	v_mul_u32_u24_e32 v3, 0xb6, v8
	v_lshlrev_b64 v[8:9], 3, v[9:10]
	v_sub_nc_u32_e32 v44, v0, v3
	v_add_co_u32 v0, s0, s8, v8
	v_add_co_ci_u32_e64 v3, s0, s9, v9, s0
	v_lshlrev_b32_e32 v8, 3, v44
	v_add_co_u32 v0, s0, v0, v6
	v_add_co_ci_u32_e64 v3, s0, v3, v7, s0
	v_add_co_u32 v6, s0, v0, v8
	v_add_co_ci_u32_e64 v7, s0, 0, v3, s0
	;; [unrolled: 2-line block ×7, first 2 shown]
	v_add_co_u32 v18, s0, 0x3000, v6
	global_load_dwordx2 v[20:21], v[6:7], off
	v_add_co_ci_u32_e64 v19, s0, 0, v7, s0
	s_clause 0x8
	global_load_dwordx2 v[30:31], v[10:11], off offset:1272
	global_load_dwordx2 v[32:33], v[8:9], off offset:1864
	;; [unrolled: 1-line block ×9, first 2 shown]
	v_cmpx_gt_u32_e32 0x5b, v44
; %bb.13:
	v_add_co_u32 v6, s0, 0x3800, v6
	v_add_co_ci_u32_e64 v7, s0, 0, v7, s0
	s_clause 0x1
	global_load_dwordx2 v[22:23], v[8:9], off offset:1136
	global_load_dwordx2 v[42:43], v[6:7], off offset:952
; %bb.14:
	s_or_b32 exec_lo, exec_lo, s4
	v_mov_b32_e32 v3, v44
.LBB0_15:
	s_or_b32 exec_lo, exec_lo, s1
	s_waitcnt vmcnt(6)
	v_sub_f32_e32 v19, v24, v30
	v_sub_f32_e32 v9, v20, v32
	s_waitcnt vmcnt(4)
	v_sub_f32_e32 v15, v26, v36
	s_waitcnt vmcnt(1)
	;; [unrolled: 2-line block ×3, first 2 shown]
	v_sub_f32_e32 v17, v34, v40
	v_fma_f32 v18, v24, 2.0, -v19
	v_sub_f32_e32 v13, v22, v42
	v_add_nc_u32_e32 v24, 0xb6, v44
	v_add_nc_u32_e32 v0, 0x38e, v44
	v_lshl_add_u32 v36, v44, 3, 0
	v_fma_f32 v8, v20, 2.0, -v9
	v_fma_f32 v14, v26, 2.0, -v15
	;; [unrolled: 1-line block ×5, first 2 shown]
	v_lshl_add_u32 v22, v24, 3, 0
	v_cmp_gt_u32_e64 s1, 0x5b, v44
	v_lshl_add_u32 v0, v0, 3, 0
	v_add_nc_u32_e32 v6, 0xa00, v36
	ds_write_b64 v36, v[8:9]
	ds_write_b64 v22, v[18:19]
	ds_write2_b64 v6, v[14:15], v[10:11] offset0:44 offset1:226
	ds_write_b64 v36, v[16:17] offset:5824
	s_and_saveexec_b32 s0, s1
	s_cbranch_execz .LBB0_17
; %bb.16:
	ds_write_b64 v0, v[12:13]
.LBB0_17:
	s_or_b32 exec_lo, exec_lo, s0
	v_add_nc_u32_e32 v40, 0xb60, v36
	v_add_nc_u32_e32 v38, 0x1110, v36
	;; [unrolled: 1-line block ×3, first 2 shown]
	v_cmp_gt_u32_e64 s0, 0x9a, v44
	s_waitcnt lgkmcnt(0)
	s_barrier
	buffer_gl0_inv
                                        ; implicit-def: $vgpr50
	s_and_saveexec_b32 s4, s0
	s_cbranch_execz .LBB0_19
; %bb.18:
	v_lshlrev_b32_e32 v6, 2, v44
	v_sub_nc_u32_e32 v6, v36, v6
	v_add_nc_u32_e32 v7, 0x400, v6
	v_add_nc_u32_e32 v10, 0x900, v6
	;; [unrolled: 1-line block ×5, first 2 shown]
	ds_read2_b32 v[8:9], v6 offset1:154
	ds_read2_b32 v[18:19], v7 offset0:52 offset1:206
	ds_read2_b32 v[14:15], v10 offset0:40 offset1:194
	;; [unrolled: 1-line block ×5, first 2 shown]
	ds_read_b32 v50, v6 offset:7392
.LBB0_19:
	s_or_b32 exec_lo, exec_lo, s4
	v_sub_f32_e32 v7, v21, v33
	v_sub_f32_e32 v33, v25, v31
	;; [unrolled: 1-line block ×5, first 2 shown]
	v_fma_f32 v6, v21, 2.0, -v7
	v_sub_f32_e32 v21, v23, v43
	v_fma_f32 v32, v25, 2.0, -v33
	v_fma_f32 v30, v27, 2.0, -v31
	;; [unrolled: 1-line block ×5, first 2 shown]
	s_waitcnt lgkmcnt(0)
	s_barrier
	buffer_gl0_inv
	ds_write_b64 v36, v[6:7]
	ds_write_b64 v22, v[32:33]
	ds_write_b64 v40, v[30:31]
	ds_write_b64 v38, v[27:28]
	ds_write_b64 v34, v[25:26]
	s_and_saveexec_b32 s4, s1
	s_cbranch_execz .LBB0_21
; %bb.20:
	ds_write_b64 v0, v[20:21]
.LBB0_21:
	s_or_b32 exec_lo, exec_lo, s4
	v_lshl_add_u32 v0, v44, 2, 0
	s_waitcnt lgkmcnt(0)
	s_barrier
	buffer_gl0_inv
                                        ; implicit-def: $vgpr43
	s_and_saveexec_b32 s1, s0
	s_cbranch_execz .LBB0_23
; %bb.22:
	v_add_nc_u32_e32 v20, 0x400, v0
	v_add_nc_u32_e32 v21, 0x900, v0
	;; [unrolled: 1-line block ×5, first 2 shown]
	ds_read2_b32 v[6:7], v0 offset1:154
	ds_read2_b32 v[32:33], v20 offset0:52 offset1:206
	ds_read2_b32 v[30:31], v21 offset0:40 offset1:194
	;; [unrolled: 1-line block ×5, first 2 shown]
	ds_read_b32 v43, v0 offset:7392
.LBB0_23:
	s_or_b32 exec_lo, exec_lo, s1
	v_and_b32_e32 v22, 1, v44
	v_mul_u32_u24_e32 v23, 12, v22
	v_lshlrev_b32_e32 v23, 3, v23
	s_clause 0x5
	global_load_dwordx4 v[51:54], v23, s[12:13]
	global_load_dwordx4 v[55:58], v23, s[12:13] offset:16
	global_load_dwordx4 v[59:62], v23, s[12:13] offset:32
	;; [unrolled: 1-line block ×5, first 2 shown]
	s_waitcnt vmcnt(0) lgkmcnt(0)
	s_barrier
	buffer_gl0_inv
	v_mul_f32_e32 v23, v9, v52
	v_mul_f32_e32 v46, v32, v54
	;; [unrolled: 1-line block ×23, first 2 shown]
	v_fma_f32 v35, v7, v51, -v23
	v_fmac_f32_e32 v40, v14, v57
	v_fma_f32 v14, v43, v73, -v70
	v_mul_f32_e32 v47, v21, v72
	v_fmac_f32_e32 v48, v9, v51
	v_fmac_f32_e32 v46, v18, v53
	v_fma_f32 v34, v32, v53, -v29
	v_fma_f32 v32, v33, v55, -v52
	v_fma_f32 v30, v30, v57, -v54
	v_fmac_f32_e32 v38, v15, v59
	v_fma_f32 v29, v31, v59, -v56
	v_fmac_f32_e32 v39, v16, v65
	v_fma_f32 v18, v25, v65, -v62
	;; [unrolled: 2-line block ×4, first 2 shown]
	v_fma_f32 v17, v20, v69, -v66
	v_sub_f32_e32 v7, v35, v14
	v_fmac_f32_e32 v42, v19, v55
	v_fmac_f32_e32 v36, v10, v61
	v_fma_f32 v23, v27, v61, -v58
	v_fmac_f32_e32 v37, v11, v63
	v_fma_f32 v19, v28, v63, -v60
	v_fmac_f32_e32 v45, v12, v69
	v_fmac_f32_e32 v47, v13, v71
	v_add_f32_e32 v20, v48, v49
	v_sub_f32_e32 v9, v34, v15
	v_sub_f32_e32 v10, v32, v17
	v_sub_f32_e32 v11, v30, v16
	v_sub_f32_e32 v12, v29, v18
	v_mul_f32_e32 v31, 0xbeedf032, v7
	v_mul_f32_e32 v51, 0xbf52af12, v7
	;; [unrolled: 1-line block ×6, first 2 shown]
	v_add_f32_e32 v55, v46, v47
	v_sub_f32_e32 v13, v23, v19
	v_mul_f32_e32 v33, 0xbf52af12, v9
	v_mul_f32_e32 v52, 0xbf6f5d39, v9
	;; [unrolled: 1-line block ×24, first 2 shown]
	v_fma_f32 v7, 0x3f62ad3f, v20, -v31
	v_fma_f32 v9, 0x3f116cb1, v20, -v51
	v_fma_f32 v10, 0x3df6dbef, v20, -v65
	v_fma_f32 v11, 0xbeb58ec6, v20, -v69
	v_fma_f32 v12, 0xbf3f9e67, v20, -v76
	v_fma_f32 v43, 0xbf788fa5, v20, -v82
	v_add_f32_e32 v61, v42, v45
	v_mul_f32_e32 v21, 0xbe750f2a, v13
	v_mul_f32_e32 v25, 0x3eedf032, v13
	;; [unrolled: 1-line block ×6, first 2 shown]
	v_fma_f32 v13, 0x3f116cb1, v55, -v33
	v_fma_f32 v84, 0xbeb58ec6, v55, -v52
	v_fma_f32 v85, 0xbf788fa5, v55, -v59
	v_fma_f32 v86, 0xbf3f9e67, v55, -v70
	v_fma_f32 v87, 0x3df6dbef, v55, -v77
	v_fma_f32 v88, 0x3f62ad3f, v55, -v83
	v_add_f32_e32 v7, v8, v7
	v_add_f32_e32 v9, v8, v9
	v_add_f32_e32 v10, v8, v10
	v_add_f32_e32 v11, v8, v11
	v_add_f32_e32 v12, v8, v12
	v_add_f32_e32 v43, v8, v43
	v_add_f32_e32 v72, v40, v41
	v_fma_f32 v89, 0x3df6dbef, v61, -v26
	v_fma_f32 v90, 0xbf788fa5, v61, -v53
	v_fma_f32 v91, 0xbeb58ec6, v61, -v60
	v_fma_f32 v92, 0x3f62ad3f, v61, -v71
	v_fma_f32 v93, 0x3f116cb1, v61, -v78
	v_fma_f32 v94, 0xbf3f9e67, v61, -v80
	v_add_f32_e32 v7, v13, v7
	v_add_f32_e32 v9, v84, v9
	v_add_f32_e32 v10, v85, v10
	v_add_f32_e32 v11, v86, v11
	v_add_f32_e32 v12, v87, v12
	v_add_f32_e32 v13, v88, v43
	v_add_f32_e32 v68, v38, v39
	;; [unrolled: 13-line block ×3, first 2 shown]
	v_fma_f32 v101, 0xbf3f9e67, v68, -v28
	v_fma_f32 v102, 0x3df6dbef, v68, -v50
	;; [unrolled: 1-line block ×6, first 2 shown]
	v_add_f32_e32 v7, v95, v7
	v_add_f32_e32 v9, v96, v9
	;; [unrolled: 1-line block ×6, first 2 shown]
	v_fma_f32 v107, 0xbf788fa5, v67, -v21
	v_fma_f32 v108, 0x3f62ad3f, v67, -v25
	v_fma_f32 v109, 0xbf3f9e67, v67, -v56
	v_fma_f32 v110, 0x3f116cb1, v67, -v64
	v_fma_f32 v111, 0xbeb58ec6, v67, -v66
	v_fma_f32 v112, 0x3df6dbef, v67, -v79
	v_add_f32_e32 v7, v101, v7
	v_add_f32_e32 v43, v102, v9
	;; [unrolled: 1-line block ×12, first 2 shown]
	v_lshrrev_b32_e32 v43, 1, v44
	s_and_saveexec_b32 s1, s0
	s_cbranch_execz .LBB0_25
; %bb.24:
	v_mul_f32_e32 v84, 0x3f62ad3f, v20
	v_mul_f32_e32 v85, 0x3f116cb1, v20
	;; [unrolled: 1-line block ×12, first 2 shown]
	v_add_f32_e32 v20, v20, v82
	v_mul_f32_e32 v94, 0x3df6dbef, v61
	v_mul_f32_e32 v95, 0xbf788fa5, v61
	;; [unrolled: 1-line block ×6, first 2 shown]
	v_add_f32_e32 v20, v8, v20
	v_add_f32_e32 v55, v55, v83
	;; [unrolled: 1-line block ×3, first 2 shown]
	v_mul_f32_e32 v99, 0xbeb58ec6, v72
	v_mul_f32_e32 v100, 0xbf3f9e67, v72
	;; [unrolled: 1-line block ×6, first 2 shown]
	v_add_f32_e32 v20, v55, v20
	v_add_f32_e32 v55, v61, v80
	;; [unrolled: 1-line block ×4, first 2 shown]
	v_mul_f32_e32 v82, 0xbf3f9e67, v68
	v_mul_f32_e32 v104, 0x3df6dbef, v68
	v_add_f32_e32 v20, v55, v20
	v_add_f32_e32 v55, v72, v81
	v_add_f32_e32 v61, v76, v61
	v_add_f32_e32 v72, v98, v78
	v_mul_f32_e32 v105, 0x3f116cb1, v68
	v_mul_f32_e32 v106, 0xbf788fa5, v68
	;; [unrolled: 1-line block ×4, first 2 shown]
	v_add_f32_e32 v69, v87, v69
	v_add_f32_e32 v20, v55, v20
	;; [unrolled: 1-line block ×48, first 2 shown]
	v_mul_f32_e32 v88, 0xbf788fa5, v67
	v_add_f32_e32 v8, v26, v8
	v_add_f32_e32 v26, v82, v28
	;; [unrolled: 1-line block ×5, first 2 shown]
	v_mul_u32_u24_e32 v51, 26, v43
	v_mul_f32_e32 v77, 0x3f62ad3f, v67
	v_add_f32_e32 v31, v31, v41
	v_mul_f32_e32 v80, 0xbf3f9e67, v67
	v_add_f32_e32 v50, v104, v50
	v_mul_f32_e32 v76, 0x3f116cb1, v67
	v_mul_f32_e32 v78, 0xbeb58ec6, v67
	v_add_f32_e32 v31, v31, v45
	v_mul_f32_e32 v67, 0x3df6dbef, v67
	v_add_f32_e32 v8, v26, v8
	v_add_f32_e32 v21, v88, v21
	;; [unrolled: 1-line block ×4, first 2 shown]
	v_or_b32_e32 v31, v51, v22
	v_add_f32_e32 v33, v50, v33
	v_add_f32_e32 v25, v77, v25
	v_add_f32_e32 v66, v78, v66
	v_add_f32_e32 v62, v76, v64
	v_add_f32_e32 v67, v67, v79
	v_add_f32_e32 v8, v21, v8
	v_add_f32_e32 v21, v26, v49
	v_lshl_add_u32 v26, v31, 2, 0
	v_add_f32_e32 v27, v28, v27
	v_add_f32_e32 v25, v25, v33
	;; [unrolled: 1-line block ×5, first 2 shown]
	ds_write2_b32 v26, v21, v8 offset1:2
	ds_write2_b32 v26, v25, v27 offset0:4 offset1:6
	ds_write2_b32 v26, v28, v55 offset0:8 offset1:10
	;; [unrolled: 1-line block ×5, first 2 shown]
	ds_write_b32 v26, v9 offset:96
.LBB0_25:
	s_or_b32 exec_lo, exec_lo, s1
	s_waitcnt lgkmcnt(0)
	s_barrier
	buffer_gl0_inv
	ds_read_b32 v8, v0
	ds_read_b32 v33, v0 offset:1144
	ds_read_b32 v31, v0 offset:2288
	;; [unrolled: 1-line block ×6, first 2 shown]
	v_cmp_gt_u32_e64 s1, 0x68, v44
                                        ; implicit-def: $vgpr20
	s_and_saveexec_b32 s4, s1
	s_cbranch_execz .LBB0_27
; %bb.26:
	ds_read_b32 v7, v0 offset:728
	ds_read_b32 v13, v0 offset:1872
	;; [unrolled: 1-line block ×7, first 2 shown]
.LBB0_27:
	s_or_b32 exec_lo, exec_lo, s4
	v_add_f32_e32 v21, v35, v14
	v_sub_f32_e32 v60, v48, v49
	v_add_f32_e32 v57, v34, v15
	v_sub_f32_e32 v73, v46, v47
	v_sub_f32_e32 v81, v42, v45
	v_mul_f32_e32 v52, 0x3f116cb1, v21
	v_mul_f32_e32 v53, 0x3f62ad3f, v21
	v_mul_f32_e32 v51, 0x3df6dbef, v21
	v_mul_f32_e32 v48, 0xbf788fa5, v21
	v_mul_f32_e32 v49, 0xbf3f9e67, v21
	v_fmamk_f32 v55, v60, 0xbf52af12, v52
	v_fmamk_f32 v54, v60, 0xbeedf032, v53
	;; [unrolled: 1-line block ×3, first 2 shown]
	v_mul_f32_e32 v47, 0xbf788fa5, v57
	v_mul_f32_e32 v50, 0xbeb58ec6, v21
	v_add_f32_e32 v59, v6, v55
	v_fmamk_f32 v55, v60, 0xbe750f2a, v48
	v_add_f32_e32 v58, v6, v54
	v_add_f32_e32 v61, v6, v56
	v_fmamk_f32 v54, v60, 0xbf29c268, v49
	v_mul_f32_e32 v46, 0x3f116cb1, v57
	v_add_f32_e32 v63, v6, v55
	v_mul_f32_e32 v55, 0xbeb58ec6, v57
	v_fmamk_f32 v66, v73, 0xbe750f2a, v47
	v_fmamk_f32 v21, v60, 0xbf6f5d39, v50
	v_add_f32_e32 v62, v6, v54
	v_fmamk_f32 v64, v73, 0xbf52af12, v46
	v_mul_f32_e32 v54, 0xbf3f9e67, v57
	v_mul_f32_e32 v56, 0x3df6dbef, v57
	v_fmamk_f32 v65, v73, 0xbf6f5d39, v55
	v_add_f32_e32 v61, v66, v61
	v_add_f32_e32 v66, v32, v17
	v_add_f32_e32 v21, v6, v21
	v_add_f32_e32 v64, v64, v58
	v_fmamk_f32 v58, v73, 0x3f29c268, v54
	v_fmamk_f32 v67, v73, 0x3f7e222b, v56
	v_add_f32_e32 v65, v65, v59
	v_mul_f32_e32 v59, 0x3f62ad3f, v57
	v_mul_f32_e32 v42, 0xbf788fa5, v66
	;; [unrolled: 1-line block ×3, first 2 shown]
	v_add_f32_e32 v21, v58, v21
	v_add_f32_e32 v67, v67, v62
	v_fmamk_f32 v62, v73, 0x3eedf032, v59
	v_mul_f32_e32 v58, 0x3f62ad3f, v66
	v_fmamk_f32 v69, v81, 0xbe750f2a, v42
	v_fmamk_f32 v70, v81, 0x3f6f5d39, v45
	v_mul_f32_e32 v57, 0x3df6dbef, v66
	v_add_f32_e32 v71, v62, v63
	v_fmamk_f32 v62, v81, 0x3eedf032, v58
	v_add_f32_e32 v65, v69, v65
	v_add_f32_e32 v69, v70, v61
	;; [unrolled: 1-line block ×3, first 2 shown]
	v_fmamk_f32 v68, v81, 0xbf7e222b, v57
	v_add_f32_e32 v21, v62, v21
	v_sub_f32_e32 v82, v40, v41
	v_mul_f32_e32 v63, 0xbf3f9e67, v66
	v_mul_f32_e32 v62, 0x3f62ad3f, v70
	v_add_f32_e32 v68, v68, v64
	v_mul_f32_e32 v64, 0x3f116cb1, v66
	v_mul_f32_e32 v41, 0xbeb58ec6, v70
	;; [unrolled: 1-line block ×3, first 2 shown]
	v_fmamk_f32 v75, v82, 0x3eedf032, v62
	v_fmamk_f32 v66, v81, 0xbf29c268, v63
	;; [unrolled: 1-line block ×5, first 2 shown]
	v_add_f32_e32 v76, v75, v69
	v_add_f32_e32 v75, v29, v18
	;; [unrolled: 1-line block ×3, first 2 shown]
	v_sub_f32_e32 v83, v38, v39
	v_add_f32_e32 v71, v66, v71
	v_add_f32_e32 v72, v72, v68
	v_mul_f32_e32 v67, 0x3df6dbef, v75
	v_add_f32_e32 v74, v74, v65
	v_mul_f32_e32 v69, 0x3df6dbef, v70
	v_mul_f32_e32 v68, 0xbf788fa5, v70
	;; [unrolled: 1-line block ×4, first 2 shown]
	v_fmamk_f32 v78, v83, 0x3f7e222b, v67
	v_fmamk_f32 v38, v82, 0xbf7e222b, v69
	v_fmamk_f32 v39, v82, 0x3e750f2a, v68
	v_fmamk_f32 v70, v82, 0x3f52af12, v66
	v_fmamk_f32 v77, v83, 0xbf29c268, v65
	v_add_f32_e32 v85, v78, v74
	v_add_f32_e32 v78, v23, v19
	;; [unrolled: 1-line block ×6, first 2 shown]
	v_mul_f32_e32 v70, 0x3f116cb1, v75
	v_mul_f32_e32 v79, 0xbf788fa5, v75
	;; [unrolled: 1-line block ×4, first 2 shown]
	v_sub_f32_e32 v84, v36, v37
	v_mul_f32_e32 v75, 0xbf788fa5, v78
	v_fmamk_f32 v36, v83, 0xbf52af12, v70
	v_fmamk_f32 v71, v83, 0x3eedf032, v77
	;; [unrolled: 1-line block ×5, first 2 shown]
	v_add_f32_e32 v86, v36, v76
	v_add_f32_e32 v87, v71, v38
	;; [unrolled: 1-line block ×3, first 2 shown]
	v_mul_f32_e32 v71, 0xbf3f9e67, v78
	v_add_f32_e32 v36, v80, v40
	v_mul_f32_e32 v80, 0x3f62ad3f, v78
	v_mul_f32_e32 v72, 0x3f116cb1, v78
	;; [unrolled: 1-line block ×4, first 2 shown]
	v_add_f32_e32 v21, v37, v21
	v_fmamk_f32 v37, v84, 0x3eedf032, v80
	v_fmamk_f32 v38, v84, 0xbf29c268, v71
	;; [unrolled: 1-line block ×5, first 2 shown]
	v_add_f32_e32 v37, v37, v85
	v_add_f32_e32 v38, v38, v86
	v_add_f32_e32 v39, v39, v21
	v_add_f32_e32 v40, v40, v87
	v_add_f32_e32 v21, v89, v88
	s_waitcnt lgkmcnt(0)
	s_barrier
	buffer_gl0_inv
	s_and_saveexec_b32 s4, s0
	s_cbranch_execz .LBB0_29
; %bb.28:
	v_add_f32_e32 v35, v6, v35
	v_mul_f32_e32 v85, 0xbeedf032, v60
	v_mul_f32_e32 v86, 0xbf52af12, v60
	v_mul_f32_e32 v88, 0xbf6f5d39, v60
	v_mul_f32_e32 v87, 0xbf7e222b, v60
	v_add_f32_e32 v34, v35, v34
	v_mul_f32_e32 v35, 0xbf29c268, v60
	v_mul_f32_e32 v60, 0xbe750f2a, v60
	;; [unrolled: 1-line block ×4, first 2 shown]
	v_add_f32_e32 v32, v34, v32
	v_sub_f32_e32 v52, v52, v86
	v_sub_f32_e32 v50, v50, v88
	v_mul_f32_e32 v92, 0x3f7e222b, v73
	v_sub_f32_e32 v51, v51, v87
	v_add_f32_e32 v30, v32, v30
	v_sub_f32_e32 v46, v46, v89
	v_mul_f32_e32 v34, 0xbe750f2a, v73
	v_mul_f32_e32 v91, 0x3f29c268, v73
	;; [unrolled: 1-line block ×3, first 2 shown]
	v_add_f32_e32 v29, v30, v29
	v_mul_f32_e32 v30, 0xbf52af12, v81
	v_mul_f32_e32 v73, 0x3eedf032, v73
	;; [unrolled: 1-line block ×4, first 2 shown]
	v_add_f32_e32 v23, v29, v23
	v_mul_f32_e32 v95, 0x3eedf032, v81
	v_sub_f32_e32 v32, v57, v32
	v_mul_f32_e32 v96, 0xbf6f5d39, v82
	v_sub_f32_e32 v30, v64, v30
	v_add_f32_e32 v19, v23, v19
	v_mul_f32_e32 v81, 0xbf29c268, v81
	v_mul_f32_e32 v29, 0x3eedf032, v82
	v_mul_f32_e32 v98, 0xbf7e222b, v82
	v_sub_f32_e32 v42, v42, v93
	v_add_f32_e32 v18, v19, v18
	v_mul_f32_e32 v99, 0x3e750f2a, v82
	v_mul_f32_e32 v97, 0x3f29c268, v82
	;; [unrolled: 5-line block ×3, first 2 shown]
	v_mul_f32_e32 v100, 0x3f7e222b, v83
	v_mul_f32_e32 v102, 0x3e750f2a, v83
	v_add_f32_e32 v16, v16, v17
	v_sub_f32_e32 v17, v53, v85
	v_mul_f32_e32 v101, 0xbf52af12, v83
	v_sub_f32_e32 v19, v77, v19
	v_mul_f32_e32 v83, 0xbf6f5d39, v83
	v_add_f32_e32 v15, v16, v15
	v_sub_f32_e32 v16, v49, v35
	v_add_f32_e32 v17, v6, v17
	v_add_f32_e32 v35, v6, v52
	;; [unrolled: 1-line block ×4, first 2 shown]
	v_sub_f32_e32 v15, v48, v60
	v_add_f32_e32 v48, v6, v50
	v_sub_f32_e32 v50, v55, v90
	v_add_f32_e32 v16, v6, v16
	;; [unrolled: 2-line block ×3, first 2 shown]
	v_add_f32_e32 v15, v46, v17
	v_sub_f32_e32 v46, v56, v92
	v_sub_f32_e32 v17, v47, v34
	v_add_f32_e32 v34, v50, v35
	v_sub_f32_e32 v35, v54, v91
	v_sub_f32_e32 v47, v59, v73
	v_add_f32_e32 v16, v46, v16
	v_add_f32_e32 v17, v17, v49
	;; [unrolled: 1-line block ×4, first 2 shown]
	v_sub_f32_e32 v32, v45, v94
	v_sub_f32_e32 v45, v58, v95
	v_add_f32_e32 v16, v30, v16
	v_sub_f32_e32 v30, v41, v96
	v_add_f32_e32 v6, v47, v6
	v_add_f32_e32 v34, v42, v34
	v_sub_f32_e32 v42, v63, v81
	v_add_f32_e32 v17, v32, v17
	;; [unrolled: 3-line block ×3, first 2 shown]
	v_sub_f32_e32 v30, v68, v99
	v_sub_f32_e32 v35, v61, v97
	v_add_f32_e32 v6, v42, v6
	v_add_f32_e32 v17, v29, v17
	;; [unrolled: 1-line block ×3, first 2 shown]
	v_sub_f32_e32 v32, v66, v82
	v_add_f32_e32 v16, v30, v16
	v_add_f32_e32 v34, v35, v34
	v_sub_f32_e32 v30, v67, v100
	v_mul_f32_e32 v103, 0xbe750f2a, v84
	v_add_f32_e32 v6, v32, v6
	v_sub_f32_e32 v32, v79, v102
	v_mul_f32_e32 v18, 0xbf29c268, v84
	v_sub_f32_e32 v35, v70, v101
	v_add_f32_e32 v16, v19, v16
	v_mul_u32_u24_e32 v19, 26, v43
	v_mul_f32_e32 v104, 0x3eedf032, v84
	v_mul_f32_e32 v105, 0x3f52af12, v84
	;; [unrolled: 1-line block ×3, first 2 shown]
	v_add_f32_e32 v15, v23, v15
	v_add_f32_e32 v23, v30, v34
	v_sub_f32_e32 v30, v74, v83
	v_mul_f32_e32 v84, 0x3f7e222b, v84
	v_add_f32_e32 v29, v32, v29
	v_sub_f32_e32 v32, v75, v103
	v_add_f32_e32 v17, v35, v17
	v_sub_f32_e32 v18, v71, v18
	v_or_b32_e32 v19, v19, v22
	v_sub_f32_e32 v34, v80, v104
	v_add_f32_e32 v6, v30, v6
	v_sub_f32_e32 v22, v72, v105
	v_sub_f32_e32 v30, v76, v106
	v_add_f32_e32 v15, v32, v15
	v_sub_f32_e32 v32, v78, v84
	v_add_f32_e32 v17, v18, v17
	v_lshl_add_u32 v18, v19, 2, 0
	v_add_f32_e32 v23, v34, v23
	v_add_f32_e32 v19, v22, v29
	;; [unrolled: 1-line block ×4, first 2 shown]
	ds_write2_b32 v18, v14, v15 offset1:2
	ds_write2_b32 v18, v23, v17 offset0:4 offset1:6
	ds_write2_b32 v18, v19, v16 offset0:8 offset1:10
	;; [unrolled: 1-line block ×5, first 2 shown]
	ds_write_b32 v18, v36 offset:96
.LBB0_29:
	s_or_b32 exec_lo, exec_lo, s4
	s_waitcnt lgkmcnt(0)
	s_barrier
	buffer_gl0_inv
	ds_read_b32 v6, v0
	ds_read_b32 v42, v0 offset:1144
	ds_read_b32 v41, v0 offset:2288
	;; [unrolled: 1-line block ×6, first 2 shown]
                                        ; implicit-def: $vgpr14
	s_and_saveexec_b32 s0, s1
	s_cbranch_execz .LBB0_31
; %bb.30:
	ds_read_b32 v21, v0 offset:728
	ds_read_b32 v40, v0 offset:1872
	;; [unrolled: 1-line block ×7, first 2 shown]
.LBB0_31:
	s_or_b32 exec_lo, exec_lo, s0
	v_and_b32_e32 v19, 0xff, v44
	v_mov_b32_e32 v29, 6
	v_mov_b32_e32 v48, 2
	v_mul_lo_u16 v19, 0x4f, v19
	v_lshrrev_b16 v22, 11, v19
	v_mov_b32_e32 v19, 0x4ec5
	v_mul_lo_u16 v23, v22, 26
	v_mul_u32_u24_sdwa v19, v24, v19 dst_sel:DWORD dst_unused:UNUSED_PAD src0_sel:WORD_0 src1_sel:DWORD
	v_sub_nc_u16 v23, v44, v23
	v_lshrrev_b32_e32 v30, 19, v19
	v_mul_u32_u24_sdwa v19, v23, v29 dst_sel:DWORD dst_unused:UNUSED_PAD src0_sel:BYTE_0 src1_sel:DWORD
	v_mul_lo_u16 v32, v30, 26
	v_lshlrev_b32_sdwa v23, v48, v23 dst_sel:DWORD dst_unused:UNUSED_PAD src0_sel:DWORD src1_sel:BYTE_0
	v_lshlrev_b32_e32 v34, 3, v19
	v_sub_nc_u16 v19, v24, v32
	s_clause 0x1
	global_load_dwordx4 v[51:54], v34, s[12:13] offset:192
	global_load_dwordx4 v[55:58], v34, s[12:13] offset:208
	v_mul_u32_u24_sdwa v24, v19, v29 dst_sel:DWORD dst_unused:UNUSED_PAD src0_sel:WORD_0 src1_sel:DWORD
	v_lshlrev_b32_e32 v24, 3, v24
	s_clause 0x3
	global_load_dwordx4 v[59:62], v34, s[12:13] offset:224
	global_load_dwordx4 v[63:66], v24, s[12:13] offset:192
	;; [unrolled: 1-line block ×4, first 2 shown]
	v_mov_b32_e32 v24, 0x2d8
	s_waitcnt vmcnt(0) lgkmcnt(0)
	s_barrier
	buffer_gl0_inv
	v_mul_u32_u24_sdwa v24, v22, v24 dst_sel:DWORD dst_unused:UNUSED_PAD src0_sel:WORD_0 src1_sel:DWORD
	v_mul_lo_u16 v22, 0xb6, v30
	v_add3_u32 v23, 0, v24, v23
	v_mul_f32_e32 v45, v42, v52
	v_mul_f32_e32 v43, v41, v54
	;; [unrolled: 1-line block ×14, first 2 shown]
	v_fmac_f32_e32 v45, v33, v51
	v_fmac_f32_e32 v43, v31, v53
	;; [unrolled: 1-line block ×4, first 2 shown]
	v_mul_f32_e32 v29, v40, v64
	v_mul_f32_e32 v24, v39, v66
	;; [unrolled: 1-line block ×6, first 2 shown]
	v_fma_f32 v33, v42, v51, -v52
	v_fma_f32 v31, v41, v53, -v54
	v_fmac_f32_e32 v46, v28, v55
	v_fma_f32 v18, v18, v55, -v56
	v_fmac_f32_e32 v47, v27, v57
	v_fma_f32 v17, v17, v57, -v58
	v_fma_f32 v16, v16, v59, -v60
	;; [unrolled: 1-line block ×3, first 2 shown]
	v_fmac_f32_e32 v32, v10, v69
	v_fmac_f32_e32 v34, v9, v71
	v_add_f32_e32 v9, v45, v50
	v_add_f32_e32 v10, v43, v49
	v_mul_f32_e32 v64, v13, v64
	v_mul_f32_e32 v66, v12, v66
	v_fmac_f32_e32 v29, v13, v63
	v_fmac_f32_e32 v24, v12, v65
	v_fmac_f32_e32 v30, v11, v67
	v_fma_f32 v25, v38, v67, -v68
	v_fma_f32 v28, v37, v69, -v70
	v_sub_f32_e32 v11, v33, v15
	v_add_f32_e32 v12, v46, v47
	v_sub_f32_e32 v13, v31, v16
	v_sub_f32_e32 v37, v17, v18
	v_add_f32_e32 v38, v10, v9
	v_fma_f32 v26, v40, v63, -v64
	v_fma_f32 v27, v39, v65, -v66
	v_sub_f32_e32 v39, v10, v9
	v_sub_f32_e32 v9, v9, v12
	;; [unrolled: 1-line block ×3, first 2 shown]
	v_add_f32_e32 v40, v37, v13
	v_sub_f32_e32 v41, v37, v13
	v_sub_f32_e32 v13, v13, v11
	v_add_f32_e32 v12, v12, v38
	v_sub_f32_e32 v37, v11, v37
	v_add_f32_e32 v11, v40, v11
	v_mul_f32_e32 v9, 0x3f4a47b2, v9
	v_mul_f32_e32 v38, 0x3d64c772, v10
	;; [unrolled: 1-line block ×4, first 2 shown]
	v_add_f32_e32 v42, v8, v12
	v_fmamk_f32 v8, v10, 0x3d64c772, v9
	v_fma_f32 v10, 0x3f3bfb3b, v39, -v38
	v_fmamk_f32 v38, v37, 0xbeae86e6, v40
	v_fma_f32 v13, 0xbf5ff5aa, v13, -v40
	v_fma_f32 v37, 0x3eae86e6, v37, -v41
	v_fmamk_f32 v12, v12, 0xbf955555, v42
	v_fma_f32 v9, 0xbf3bfb3b, v39, -v9
	v_mul_f32_e32 v35, v14, v74
	v_mul_f32_e32 v74, v20, v74
	v_fmac_f32_e32 v38, 0xbee1c552, v11
	v_fmac_f32_e32 v13, 0xbee1c552, v11
	;; [unrolled: 1-line block ×3, first 2 shown]
	v_add_f32_e32 v11, v8, v12
	v_add_f32_e32 v9, v9, v12
	;; [unrolled: 1-line block ×3, first 2 shown]
	v_fma_f32 v8, v36, v71, -v72
	v_fmac_f32_e32 v35, v20, v73
	v_add_f32_e32 v12, v38, v11
	v_add_f32_e32 v20, v37, v9
	v_sub_f32_e32 v36, v10, v13
	v_add_f32_e32 v10, v13, v10
	v_sub_f32_e32 v13, v9, v37
	v_fma_f32 v9, v14, v73, -v74
	v_sub_f32_e32 v11, v11, v38
	ds_write2_b32 v23, v42, v12 offset1:26
	ds_write2_b32 v23, v20, v36 offset0:52 offset1:78
	ds_write2_b32 v23, v10, v13 offset0:104 offset1:130
	ds_write_b32 v23, v11 offset:624
	s_and_saveexec_b32 s0, s1
	s_cbranch_execz .LBB0_33
; %bb.32:
	v_add_f32_e32 v10, v29, v35
	v_add_f32_e32 v11, v24, v34
	;; [unrolled: 1-line block ×3, first 2 shown]
	v_sub_f32_e32 v13, v26, v9
	v_sub_f32_e32 v14, v28, v25
	;; [unrolled: 1-line block ×3, first 2 shown]
	v_add_f32_e32 v20, v11, v10
	v_sub_f32_e32 v37, v10, v12
	v_sub_f32_e32 v38, v12, v11
	;; [unrolled: 1-line block ×4, first 2 shown]
	v_add_f32_e32 v12, v12, v20
	v_sub_f32_e32 v20, v14, v36
	v_add_f32_e32 v14, v14, v36
	v_sub_f32_e32 v36, v36, v13
	v_mul_f32_e32 v11, 0x3f4a47b2, v37
	v_add_f32_e32 v7, v7, v12
	v_mul_f32_e32 v37, 0x3d64c772, v38
	v_mul_f32_e32 v20, 0x3f08b237, v20
	;; [unrolled: 1-line block ×3, first 2 shown]
	v_fmamk_f32 v38, v38, 0x3d64c772, v11
	v_fmamk_f32 v12, v12, 0xbf955555, v7
	v_add_f32_e32 v13, v14, v13
	v_fmamk_f32 v14, v39, 0xbeae86e6, v20
	v_fma_f32 v11, 0xbf3bfb3b, v10, -v11
	v_fma_f32 v39, 0x3eae86e6, v39, -v40
	;; [unrolled: 1-line block ×4, first 2 shown]
	v_add_f32_e32 v38, v38, v12
	v_fmac_f32_e32 v14, 0xbee1c552, v13
	v_add_f32_e32 v11, v11, v12
	v_fmac_f32_e32 v39, 0xbee1c552, v13
	v_fmac_f32_e32 v20, 0xbee1c552, v13
	v_add_f32_e32 v10, v10, v12
	v_lshlrev_b32_sdwa v12, v48, v19 dst_sel:DWORD dst_unused:UNUSED_PAD src0_sel:DWORD src1_sel:WORD_0
	v_lshlrev_b32_sdwa v13, v48, v22 dst_sel:DWORD dst_unused:UNUSED_PAD src0_sel:DWORD src1_sel:WORD_0
	v_add_f32_e32 v40, v14, v38
	v_sub_f32_e32 v36, v11, v39
	v_sub_f32_e32 v37, v10, v20
	v_add_f32_e32 v11, v39, v11
	v_add3_u32 v12, 0, v12, v13
	v_add_f32_e32 v10, v20, v10
	v_sub_f32_e32 v13, v38, v14
	ds_write2_b32 v12, v7, v40 offset1:26
	ds_write2_b32 v12, v11, v37 offset0:52 offset1:78
	ds_write2_b32 v12, v10, v36 offset0:104 offset1:130
	ds_write_b32 v12, v13 offset:624
.LBB0_33:
	s_or_b32 exec_lo, exec_lo, s0
	v_add_f32_e32 v7, v33, v15
	v_add_f32_e32 v10, v31, v16
	;; [unrolled: 1-line block ×3, first 2 shown]
	v_sub_f32_e32 v13, v43, v49
	v_sub_f32_e32 v14, v47, v46
	;; [unrolled: 1-line block ×3, first 2 shown]
	v_add_f32_e32 v15, v10, v7
	v_sub_f32_e32 v16, v10, v7
	v_sub_f32_e32 v7, v7, v12
	;; [unrolled: 1-line block ×3, first 2 shown]
	v_add_f32_e32 v17, v14, v13
	v_add_f32_e32 v12, v12, v15
	v_sub_f32_e32 v15, v14, v13
	v_sub_f32_e32 v13, v13, v11
	v_sub_f32_e32 v14, v11, v14
	v_add_f32_e32 v20, v17, v11
	v_add_f32_e32 v31, v6, v12
	v_mul_f32_e32 v6, 0x3f4a47b2, v7
	v_mul_f32_e32 v7, 0x3d64c772, v10
	;; [unrolled: 1-line block ×4, first 2 shown]
	v_fmamk_f32 v33, v12, 0xbf955555, v31
	v_fmamk_f32 v10, v10, 0x3d64c772, v6
	v_fma_f32 v7, 0x3f3bfb3b, v16, -v7
	v_fmamk_f32 v37, v14, 0xbeae86e6, v11
	v_fma_f32 v38, 0xbf5ff5aa, v13, -v11
	v_add_nc_u32_e32 v11, 0xb00, v0
	v_add_f32_e32 v40, v10, v33
	v_add_nc_u32_e32 v10, 0x500, v0
	v_add_nc_u32_e32 v12, 0x1000, v0
	v_fma_f32 v36, 0xbf3bfb3b, v16, -v6
	v_add_nc_u32_e32 v16, 0x1600, v0
	v_fma_f32 v39, 0x3eae86e6, v14, -v15
	v_add_f32_e32 v41, v7, v33
	s_waitcnt lgkmcnt(0)
	s_barrier
	buffer_gl0_inv
	ds_read2_b32 v[6:7], v0 offset1:182
	ds_read2_b32 v[14:15], v10 offset0:44 offset1:226
	ds_read2_b32 v[10:11], v11 offset0:24 offset1:206
	;; [unrolled: 1-line block ×4, first 2 shown]
	ds_read_b32 v18, v0 offset:7280
	v_fmac_f32_e32 v37, 0xbee1c552, v20
	v_add_f32_e32 v33, v36, v33
	v_fmac_f32_e32 v39, 0xbee1c552, v20
	v_fmac_f32_e32 v38, 0xbee1c552, v20
	s_waitcnt lgkmcnt(0)
	v_sub_f32_e32 v20, v40, v37
	v_add_f32_e32 v37, v37, v40
	v_sub_f32_e32 v36, v33, v39
	v_add_f32_e32 v42, v38, v41
	;; [unrolled: 2-line block ×3, first 2 shown]
	s_barrier
	buffer_gl0_inv
	ds_write2_b32 v23, v31, v20 offset1:26
	ds_write2_b32 v23, v36, v42 offset0:52 offset1:78
	ds_write2_b32 v23, v38, v33 offset0:104 offset1:130
	ds_write_b32 v23, v37 offset:624
	s_and_saveexec_b32 s0, s1
	s_cbranch_execz .LBB0_35
; %bb.34:
	v_add_f32_e32 v9, v26, v9
	v_add_f32_e32 v8, v27, v8
	;; [unrolled: 1-line block ×3, first 2 shown]
	v_sub_f32_e32 v24, v24, v34
	v_sub_f32_e32 v25, v32, v30
	;; [unrolled: 1-line block ×3, first 2 shown]
	v_add_f32_e32 v26, v8, v9
	v_sub_f32_e32 v27, v8, v9
	v_sub_f32_e32 v9, v9, v23
	v_sub_f32_e32 v8, v23, v8
	v_add_f32_e32 v28, v25, v24
	v_add_f32_e32 v23, v23, v26
	v_sub_f32_e32 v26, v25, v24
	v_sub_f32_e32 v25, v20, v25
	;; [unrolled: 1-line block ×3, first 2 shown]
	v_add_f32_e32 v20, v28, v20
	v_add_f32_e32 v21, v21, v23
	v_mul_f32_e32 v28, 0x3d64c772, v8
	v_mul_f32_e32 v9, 0x3f4a47b2, v9
	;; [unrolled: 1-line block ×4, first 2 shown]
	v_fmamk_f32 v23, v23, 0xbf955555, v21
	v_fma_f32 v28, 0x3f3bfb3b, v27, -v28
	v_fmamk_f32 v8, v8, 0x3d64c772, v9
	v_fma_f32 v9, 0xbf3bfb3b, v27, -v9
	;; [unrolled: 2-line block ×3, first 2 shown]
	v_fma_f32 v25, 0x3eae86e6, v25, -v29
	v_add_f32_e32 v26, v28, v23
	v_mov_b32_e32 v28, 2
	v_add_f32_e32 v8, v8, v23
	v_fmac_f32_e32 v27, 0xbee1c552, v20
	v_fmac_f32_e32 v24, 0xbee1c552, v20
	;; [unrolled: 1-line block ×3, first 2 shown]
	v_lshlrev_b32_sdwa v19, v28, v19 dst_sel:DWORD dst_unused:UNUSED_PAD src0_sel:DWORD src1_sel:WORD_0
	v_lshlrev_b32_sdwa v20, v28, v22 dst_sel:DWORD dst_unused:UNUSED_PAD src0_sel:DWORD src1_sel:WORD_0
	v_add_f32_e32 v9, v9, v23
	v_sub_f32_e32 v22, v8, v27
	v_add_f32_e32 v28, v24, v26
	v_add_f32_e32 v8, v27, v8
	v_add3_u32 v19, 0, v19, v20
	v_sub_f32_e32 v23, v9, v25
	v_sub_f32_e32 v20, v26, v24
	v_add_f32_e32 v9, v25, v9
	ds_write2_b32 v19, v21, v22 offset1:26
	ds_write2_b32 v19, v23, v28 offset0:52 offset1:78
	ds_write2_b32 v19, v20, v9 offset0:104 offset1:130
	ds_write_b32 v19, v8 offset:624
.LBB0_35:
	s_or_b32 exec_lo, exec_lo, s0
	s_waitcnt lgkmcnt(0)
	s_barrier
	buffer_gl0_inv
	s_and_saveexec_b32 s0, vcc_lo
	s_cbranch_execz .LBB0_37
; %bb.36:
	v_mul_u32_u24_e32 v8, 10, v44
	v_mul_lo_u32 v41, s3, v4
	v_mul_lo_u32 v5, s2, v5
	v_mad_u64_u32 v[39:40], null, s2, v4, 0
	v_lshlrev_b32_e32 v8, 3, v8
	v_add_nc_u32_e32 v42, 0x500, v0
	v_add_nc_u32_e32 v45, 0xb00, v0
	;; [unrolled: 1-line block ×3, first 2 shown]
	v_mov_b32_e32 v4, 0
	s_clause 0x4
	global_load_dwordx4 v[19:22], v8, s[12:13] offset:1440
	global_load_dwordx4 v[23:26], v8, s[12:13] offset:1504
	global_load_dwordx4 v[27:30], v8, s[12:13] offset:1456
	global_load_dwordx4 v[31:34], v8, s[12:13] offset:1488
	global_load_dwordx4 v[35:38], v8, s[12:13] offset:1472
	v_add3_u32 v40, v40, v5, v41
	v_add_nc_u32_e32 v5, 0x1600, v0
	ds_read2_b32 v[8:9], v0 offset1:182
	ds_read_b32 v47, v0 offset:7280
	v_lshlrev_b64 v[0:1], 3, v[1:2]
	ds_read2_b32 v[41:42], v42 offset0:44 offset1:226
	ds_read2_b32 v[43:44], v5 offset0:48 offset1:230
	;; [unrolled: 1-line block ×3, first 2 shown]
	v_lshlrev_b64 v[39:40], 3, v[39:40]
	v_lshlrev_b64 v[2:3], 3, v[3:4]
	v_add_co_u32 v5, vcc_lo, s10, v39
	v_add_co_ci_u32_e32 v39, vcc_lo, s11, v40, vcc_lo
	v_add_co_u32 v0, vcc_lo, v5, v0
	v_add_co_ci_u32_e32 v1, vcc_lo, v39, v1, vcc_lo
	ds_read2_b32 v[39:40], v48 offset0:68 offset1:250
	v_add_co_u32 v0, vcc_lo, v0, v2
	v_add_co_ci_u32_e32 v1, vcc_lo, v1, v3, vcc_lo
	s_waitcnt vmcnt(4)
	v_mul_f32_e32 v48, v7, v19
	s_waitcnt vmcnt(3)
	v_mul_f32_e32 v2, v18, v25
	v_mul_f32_e32 v5, v18, v26
	;; [unrolled: 1-line block ×7, first 2 shown]
	s_waitcnt vmcnt(2)
	v_mul_f32_e32 v50, v15, v27
	s_waitcnt vmcnt(1)
	v_mul_f32_e32 v4, v16, v33
	v_mul_f32_e32 v16, v16, v34
	;; [unrolled: 1-line block ×7, first 2 shown]
	s_waitcnt vmcnt(0)
	v_mul_f32_e32 v53, v11, v35
	v_mul_f32_e32 v54, v12, v37
	;; [unrolled: 1-line block ×4, first 2 shown]
	s_waitcnt lgkmcnt(5)
	v_fmac_f32_e32 v48, v9, v20
	s_waitcnt lgkmcnt(4)
	v_fmac_f32_e32 v2, v47, v26
	v_fma_f32 v5, v47, v25, -v5
	v_fma_f32 v19, v9, v19, -v7
	s_waitcnt lgkmcnt(3)
	v_fmac_f32_e32 v18, v41, v22
	s_waitcnt lgkmcnt(2)
	v_fmac_f32_e32 v3, v44, v24
	v_fma_f32 v7, v44, v23, -v17
	v_fma_f32 v17, v41, v21, -v49
	v_fmac_f32_e32 v50, v42, v28
	v_fmac_f32_e32 v4, v43, v34
	v_fma_f32 v9, v43, v33, -v16
	v_fma_f32 v15, v42, v27, -v15
	s_waitcnt lgkmcnt(1)
	v_fmac_f32_e32 v51, v45, v30
	s_waitcnt lgkmcnt(0)
	v_fmac_f32_e32 v14, v40, v32
	v_fma_f32 v10, v40, v31, -v13
	v_fma_f32 v13, v45, v29, -v52
	v_fmac_f32_e32 v53, v46, v36
	v_fmac_f32_e32 v54, v39, v38
	v_fma_f32 v21, v39, v37, -v12
	v_fma_f32 v22, v46, v35, -v11
	v_sub_f32_e32 v11, v48, v2
	v_add_f32_e32 v12, v19, v5
	v_sub_f32_e32 v16, v18, v3
	v_sub_f32_e32 v23, v50, v4
	v_sub_f32_e32 v25, v51, v14
	v_sub_f32_e32 v27, v53, v54
	v_sub_f32_e32 v30, v19, v5
	v_sub_f32_e32 v32, v17, v7
	v_sub_f32_e32 v34, v15, v9
	v_add_f32_e32 v19, v19, v8
	v_add_f32_e32 v35, v6, v48
	v_sub_f32_e32 v36, v13, v10
	v_add_f32_e32 v20, v17, v7
	v_add_f32_e32 v24, v15, v9
	;; [unrolled: 1-line block ×8, first 2 shown]
	v_sub_f32_e32 v38, v22, v21
	v_mul_f32_e32 v40, 0xbf0a6770, v11
	v_mul_f32_e32 v41, 0xbf68dda4, v16
	;; [unrolled: 1-line block ×40, first 2 shown]
	v_add_f32_e32 v17, v19, v17
	v_add_f32_e32 v18, v35, v18
	v_mul_f32_e32 v35, 0xbf4178ce, v36
	v_mul_f32_e32 v76, 0x3f7d64f0, v36
	;; [unrolled: 1-line block ×5, first 2 shown]
	v_add_f32_e32 v39, v53, v54
	v_mul_f32_e32 v79, 0xbe903f40, v38
	v_mul_f32_e32 v80, 0x3f0a6770, v38
	;; [unrolled: 1-line block ×5, first 2 shown]
	v_fmamk_f32 v19, v12, 0x3f575c64, v40
	v_fmamk_f32 v83, v20, 0x3ed4b147, v41
	v_fmamk_f32 v84, v24, 0xbe11bafb, v42
	v_fmamk_f32 v85, v26, 0xbf27a4f4, v43
	v_fmamk_f32 v86, v28, 0xbf75a155, v44
	v_fma_f32 v87, 0x3f575c64, v29, -v45
	v_fma_f32 v88, 0x3ed4b147, v31, -v46
	v_fma_f32 v89, 0xbe11bafb, v33, -v47
	v_fmamk_f32 v90, v12, 0x3ed4b147, v48
	v_fmamk_f32 v91, v20, 0xbf27a4f4, v49
	v_fmamk_f32 v92, v24, 0xbf75a155, v52
	v_fmamk_f32 v93, v26, 0xbe11bafb, v55
	v_fmamk_f32 v94, v28, 0x3f575c64, v56
	v_fma_f32 v95, 0x3ed4b147, v29, -v57
	v_fma_f32 v96, 0xbf27a4f4, v31, -v58
	v_fma_f32 v97, 0xbf75a155, v33, -v59
	;; [unrolled: 8-line block ×4, first 2 shown]
	v_fma_f32 v48, 0x3ed4b147, v12, -v48
	v_fma_f32 v40, 0x3f575c64, v12, -v40
	v_fmamk_f32 v112, v28, 0x3ed4b147, v72
	v_fma_f32 v113, 0xbf27a4f4, v29, -v73
	v_fma_f32 v114, 0xbf75a155, v29, -v30
	v_fmac_f32_e32 v30, 0xbf75a155, v29
	v_fmac_f32_e32 v73, 0xbf27a4f4, v29
	;; [unrolled: 1-line block ×5, first 2 shown]
	v_fma_f32 v29, 0xbe11bafb, v31, -v74
	v_fma_f32 v115, 0x3f575c64, v33, -v75
	v_fmamk_f32 v116, v20, 0x3f575c64, v16
	v_fma_f32 v117, 0x3f575c64, v20, -v16
	v_fma_f32 v69, 0xbe11bafb, v20, -v69
	v_fma_f32 v61, 0xbf75a155, v20, -v61
	v_fma_f32 v49, 0xbf27a4f4, v20, -v49
	v_fma_f32 v41, 0x3ed4b147, v20, -v41
	v_fmamk_f32 v118, v24, 0xbf27a4f4, v23
	v_fma_f32 v23, 0xbf27a4f4, v24, -v23
	v_fma_f32 v70, 0x3f575c64, v24, -v70
	v_fma_f32 v62, 0x3ed4b147, v24, -v62
	;; [unrolled: 6-line block ×4, first 2 shown]
	v_fma_f32 v56, 0x3f575c64, v28, -v56
	v_fma_f32 v44, 0xbf75a155, v28, -v44
	;; [unrolled: 1-line block ×3, first 2 shown]
	v_fmac_f32_e32 v32, 0x3f575c64, v31
	v_fmac_f32_e32 v74, 0xbe11bafb, v31
	;; [unrolled: 1-line block ×5, first 2 shown]
	v_fma_f32 v28, 0xbf27a4f4, v33, -v34
	v_fmac_f32_e32 v34, 0xbf27a4f4, v33
	v_fmac_f32_e32 v75, 0x3f575c64, v33
	;; [unrolled: 1-line block ×5, first 2 shown]
	v_fma_f32 v31, 0x3ed4b147, v37, -v36
	v_fmac_f32_e32 v36, 0x3ed4b147, v37
	v_fma_f32 v33, 0xbf75a155, v37, -v78
	v_fmac_f32_e32 v78, 0xbf75a155, v37
	;; [unrolled: 2-line block ×5, first 2 shown]
	v_add_f32_e32 v20, v17, v15
	v_add_f32_e32 v37, v18, v50
	v_fma_f32 v50, 0xbe11bafb, v39, -v38
	v_fmac_f32_e32 v38, 0xbe11bafb, v39
	v_fma_f32 v123, 0x3ed4b147, v39, -v82
	v_fmac_f32_e32 v82, 0x3ed4b147, v39
	;; [unrolled: 2-line block ×5, first 2 shown]
	v_add_f32_e32 v39, v8, v19
	v_add_f32_e32 v90, v8, v90
	;; [unrolled: 1-line block ×67, first 2 shown]
	v_add_co_u32 v11, vcc_lo, 0x800, v0
	v_add_f32_e32 v57, v61, v67
	v_add_f32_e32 v46, v87, v105
	;; [unrolled: 1-line block ×5, first 2 shown]
	v_add_co_ci_u32_e32 v12, vcc_lo, 0, v1, vcc_lo
	v_add_f32_e32 v22, v37, v85
	v_add_f32_e32 v37, v40, v93
	;; [unrolled: 1-line block ×10, first 2 shown]
	v_add_co_u32 v15, vcc_lo, 0x1000, v0
	v_add_f32_e32 v48, v48, v55
	v_add_f32_e32 v49, v49, v76
	v_add_co_ci_u32_e32 v16, vcc_lo, 0, v1, vcc_lo
	v_add_f32_e32 v47, v57, v77
	v_add_co_u32 v17, vcc_lo, 0x1800, v0
	v_add_f32_e32 v24, v39, v122
	v_add_f32_e32 v39, v41, v121
	;; [unrolled: 1-line block ×10, first 2 shown]
	v_add_co_ci_u32_e32 v18, vcc_lo, 0, v1, vcc_lo
	v_add_co_u32 v19, vcc_lo, 0x2000, v0
	v_add_f32_e32 v4, v48, v56
	v_add_f32_e32 v10, v51, v44
	v_add_f32_e32 v3, v49, v80
	v_add_f32_e32 v7, v47, v81
	v_add_co_ci_u32_e32 v20, vcc_lo, 0, v1, vcc_lo
	v_add_f32_e32 v30, v31, v119
	v_add_f32_e32 v32, v42, v72
	;; [unrolled: 1-line block ×7, first 2 shown]
	v_add_co_u32 v2, vcc_lo, 0x2800, v0
	global_store_dwordx2 v[0:1], v[9:10], off offset:1456
	global_store_dwordx2 v[11:12], v[3:4], off offset:864
	;; [unrolled: 1-line block ×5, first 2 shown]
	global_store_dwordx2 v[0:1], v[5:6], off
	v_add_co_ci_u32_e32 v3, vcc_lo, 0, v1, vcc_lo
	v_add_co_u32 v4, vcc_lo, 0x3000, v0
	v_add_f32_e32 v27, v27, v50
	v_add_f32_e32 v26, v45, v112
	v_add_co_ci_u32_e32 v5, vcc_lo, 0, v1, vcc_lo
	v_add_f32_e32 v13, v24, v126
	v_add_f32_e32 v24, v40, v102
	;; [unrolled: 1-line block ×3, first 2 shown]
	v_add_co_u32 v0, vcc_lo, 0x3800, v0
	v_add_f32_e32 v14, v22, v86
	v_add_f32_e32 v22, v37, v94
	;; [unrolled: 1-line block ×3, first 2 shown]
	v_add_co_ci_u32_e32 v1, vcc_lo, 0, v1, vcc_lo
	global_store_dwordx2 v[19:20], v[27:28], off offset:544
	global_store_dwordx2 v[19:20], v[25:26], off offset:2000
	;; [unrolled: 1-line block ×5, first 2 shown]
.LBB0_37:
	s_endpgm
	.section	.rodata,"a",@progbits
	.p2align	6, 0x0
	.amdhsa_kernel fft_rtc_back_len2002_factors_2_13_7_11_wgs_182_tpt_182_halfLds_sp_op_CI_CI_unitstride_sbrr_dirReg
		.amdhsa_group_segment_fixed_size 0
		.amdhsa_private_segment_fixed_size 0
		.amdhsa_kernarg_size 104
		.amdhsa_user_sgpr_count 6
		.amdhsa_user_sgpr_private_segment_buffer 1
		.amdhsa_user_sgpr_dispatch_ptr 0
		.amdhsa_user_sgpr_queue_ptr 0
		.amdhsa_user_sgpr_kernarg_segment_ptr 1
		.amdhsa_user_sgpr_dispatch_id 0
		.amdhsa_user_sgpr_flat_scratch_init 0
		.amdhsa_user_sgpr_private_segment_size 0
		.amdhsa_wavefront_size32 1
		.amdhsa_uses_dynamic_stack 0
		.amdhsa_system_sgpr_private_segment_wavefront_offset 0
		.amdhsa_system_sgpr_workgroup_id_x 1
		.amdhsa_system_sgpr_workgroup_id_y 0
		.amdhsa_system_sgpr_workgroup_id_z 0
		.amdhsa_system_sgpr_workgroup_info 0
		.amdhsa_system_vgpr_workitem_id 0
		.amdhsa_next_free_vgpr 127
		.amdhsa_next_free_sgpr 27
		.amdhsa_reserve_vcc 1
		.amdhsa_reserve_flat_scratch 0
		.amdhsa_float_round_mode_32 0
		.amdhsa_float_round_mode_16_64 0
		.amdhsa_float_denorm_mode_32 3
		.amdhsa_float_denorm_mode_16_64 3
		.amdhsa_dx10_clamp 1
		.amdhsa_ieee_mode 1
		.amdhsa_fp16_overflow 0
		.amdhsa_workgroup_processor_mode 1
		.amdhsa_memory_ordered 1
		.amdhsa_forward_progress 0
		.amdhsa_shared_vgpr_count 0
		.amdhsa_exception_fp_ieee_invalid_op 0
		.amdhsa_exception_fp_denorm_src 0
		.amdhsa_exception_fp_ieee_div_zero 0
		.amdhsa_exception_fp_ieee_overflow 0
		.amdhsa_exception_fp_ieee_underflow 0
		.amdhsa_exception_fp_ieee_inexact 0
		.amdhsa_exception_int_div_zero 0
	.end_amdhsa_kernel
	.text
.Lfunc_end0:
	.size	fft_rtc_back_len2002_factors_2_13_7_11_wgs_182_tpt_182_halfLds_sp_op_CI_CI_unitstride_sbrr_dirReg, .Lfunc_end0-fft_rtc_back_len2002_factors_2_13_7_11_wgs_182_tpt_182_halfLds_sp_op_CI_CI_unitstride_sbrr_dirReg
                                        ; -- End function
	.section	.AMDGPU.csdata,"",@progbits
; Kernel info:
; codeLenInByte = 10376
; NumSgprs: 29
; NumVgprs: 127
; ScratchSize: 0
; MemoryBound: 0
; FloatMode: 240
; IeeeMode: 1
; LDSByteSize: 0 bytes/workgroup (compile time only)
; SGPRBlocks: 3
; VGPRBlocks: 15
; NumSGPRsForWavesPerEU: 29
; NumVGPRsForWavesPerEU: 127
; Occupancy: 8
; WaveLimiterHint : 1
; COMPUTE_PGM_RSRC2:SCRATCH_EN: 0
; COMPUTE_PGM_RSRC2:USER_SGPR: 6
; COMPUTE_PGM_RSRC2:TRAP_HANDLER: 0
; COMPUTE_PGM_RSRC2:TGID_X_EN: 1
; COMPUTE_PGM_RSRC2:TGID_Y_EN: 0
; COMPUTE_PGM_RSRC2:TGID_Z_EN: 0
; COMPUTE_PGM_RSRC2:TIDIG_COMP_CNT: 0
	.text
	.p2alignl 6, 3214868480
	.fill 48, 4, 3214868480
	.type	__hip_cuid_f5fa89cc47c5ca88,@object ; @__hip_cuid_f5fa89cc47c5ca88
	.section	.bss,"aw",@nobits
	.globl	__hip_cuid_f5fa89cc47c5ca88
__hip_cuid_f5fa89cc47c5ca88:
	.byte	0                               ; 0x0
	.size	__hip_cuid_f5fa89cc47c5ca88, 1

	.ident	"AMD clang version 19.0.0git (https://github.com/RadeonOpenCompute/llvm-project roc-6.4.0 25133 c7fe45cf4b819c5991fe208aaa96edf142730f1d)"
	.section	".note.GNU-stack","",@progbits
	.addrsig
	.addrsig_sym __hip_cuid_f5fa89cc47c5ca88
	.amdgpu_metadata
---
amdhsa.kernels:
  - .args:
      - .actual_access:  read_only
        .address_space:  global
        .offset:         0
        .size:           8
        .value_kind:     global_buffer
      - .offset:         8
        .size:           8
        .value_kind:     by_value
      - .actual_access:  read_only
        .address_space:  global
        .offset:         16
        .size:           8
        .value_kind:     global_buffer
      - .actual_access:  read_only
        .address_space:  global
        .offset:         24
        .size:           8
        .value_kind:     global_buffer
      - .actual_access:  read_only
        .address_space:  global
        .offset:         32
        .size:           8
        .value_kind:     global_buffer
      - .offset:         40
        .size:           8
        .value_kind:     by_value
      - .actual_access:  read_only
        .address_space:  global
        .offset:         48
        .size:           8
        .value_kind:     global_buffer
      - .actual_access:  read_only
        .address_space:  global
        .offset:         56
        .size:           8
        .value_kind:     global_buffer
      - .offset:         64
        .size:           4
        .value_kind:     by_value
      - .actual_access:  read_only
        .address_space:  global
        .offset:         72
        .size:           8
        .value_kind:     global_buffer
      - .actual_access:  read_only
        .address_space:  global
        .offset:         80
        .size:           8
        .value_kind:     global_buffer
      - .actual_access:  read_only
        .address_space:  global
        .offset:         88
        .size:           8
        .value_kind:     global_buffer
      - .actual_access:  write_only
        .address_space:  global
        .offset:         96
        .size:           8
        .value_kind:     global_buffer
    .group_segment_fixed_size: 0
    .kernarg_segment_align: 8
    .kernarg_segment_size: 104
    .language:       OpenCL C
    .language_version:
      - 2
      - 0
    .max_flat_workgroup_size: 182
    .name:           fft_rtc_back_len2002_factors_2_13_7_11_wgs_182_tpt_182_halfLds_sp_op_CI_CI_unitstride_sbrr_dirReg
    .private_segment_fixed_size: 0
    .sgpr_count:     29
    .sgpr_spill_count: 0
    .symbol:         fft_rtc_back_len2002_factors_2_13_7_11_wgs_182_tpt_182_halfLds_sp_op_CI_CI_unitstride_sbrr_dirReg.kd
    .uniform_work_group_size: 1
    .uses_dynamic_stack: false
    .vgpr_count:     127
    .vgpr_spill_count: 0
    .wavefront_size: 32
    .workgroup_processor_mode: 1
amdhsa.target:   amdgcn-amd-amdhsa--gfx1030
amdhsa.version:
  - 1
  - 2
...

	.end_amdgpu_metadata
